;; amdgpu-corpus repo=zjin-lcf/HeCBench kind=compiled arch=gfx1100 opt=O3
	.text
	.amdgcn_target "amdgcn-amd-amdhsa--gfx1100"
	.amdhsa_code_object_version 6
	.protected	_Z7extractlPf           ; -- Begin function _Z7extractlPf
	.globl	_Z7extractlPf
	.p2align	8
	.type	_Z7extractlPf,@function
_Z7extractlPf:                          ; @_Z7extractlPf
; %bb.0:
	s_load_b128 s[0:3], s[0:1], 0x0
	v_lshl_add_u32 v0, s15, 8, v0
	s_delay_alu instid0(VALU_DEP_1) | instskip(SKIP_1) | instid1(VALU_DEP_1)
	v_ashrrev_i32_e32 v1, 31, v0
	s_waitcnt lgkmcnt(0)
	v_cmp_gt_i64_e32 vcc_lo, s[0:1], v[0:1]
	s_and_saveexec_b32 s0, vcc_lo
	s_cbranch_execz .LBB0_2
; %bb.1:
	v_lshlrev_b64 v[0:1], 2, v[0:1]
	s_delay_alu instid0(VALU_DEP_1) | instskip(NEXT) | instid1(VALU_DEP_2)
	v_add_co_u32 v0, vcc_lo, s2, v0
	v_add_co_ci_u32_e32 v1, vcc_lo, s3, v1, vcc_lo
	global_load_b32 v2, v[0:1], off
	s_waitcnt vmcnt(0)
	v_div_scale_f32 v3, null, 0x437f0000, 0x437f0000, v2
	v_div_scale_f32 v6, vcc_lo, v2, 0x437f0000, v2
	s_delay_alu instid0(VALU_DEP_2) | instskip(SKIP_2) | instid1(VALU_DEP_1)
	v_rcp_f32_e32 v4, v3
	s_waitcnt_depctr 0xfff
	v_fma_f32 v5, -v3, v4, 1.0
	v_fmac_f32_e32 v4, v5, v4
	s_delay_alu instid0(VALU_DEP_1) | instskip(NEXT) | instid1(VALU_DEP_1)
	v_mul_f32_e32 v5, v6, v4
	v_fma_f32 v7, -v3, v5, v6
	s_delay_alu instid0(VALU_DEP_1) | instskip(NEXT) | instid1(VALU_DEP_1)
	v_fmac_f32_e32 v5, v7, v4
	v_fma_f32 v3, -v3, v5, v6
	s_delay_alu instid0(VALU_DEP_1) | instskip(NEXT) | instid1(VALU_DEP_1)
	v_div_fmas_f32 v3, v3, v4, v5
	v_div_fixup_f32 v2, v3, 0x437f0000, v2
	s_delay_alu instid0(VALU_DEP_1) | instskip(SKIP_1) | instid1(VALU_DEP_2)
	v_mul_f32_e32 v3, 0x3fb8aa3b, v2
	v_cmp_ngt_f32_e32 vcc_lo, 0xc2ce8ed0, v2
	v_fma_f32 v4, 0x3fb8aa3b, v2, -v3
	v_rndne_f32_e32 v5, v3
	s_delay_alu instid0(VALU_DEP_1) | instskip(NEXT) | instid1(VALU_DEP_1)
	v_dual_fmamk_f32 v4, v2, 0x32a5705f, v4 :: v_dual_sub_f32 v3, v3, v5
	v_add_f32_e32 v3, v3, v4
	v_cvt_i32_f32_e32 v4, v5
	s_delay_alu instid0(VALU_DEP_2) | instskip(SKIP_2) | instid1(VALU_DEP_1)
	v_exp_f32_e32 v3, v3
	s_waitcnt_depctr 0xfff
	v_ldexp_f32 v3, v3, v4
	v_cndmask_b32_e32 v3, 0, v3, vcc_lo
	v_cmp_nlt_f32_e32 vcc_lo, 0x42b17218, v2
	s_delay_alu instid0(VALU_DEP_2)
	v_cndmask_b32_e32 v2, 0x7f800000, v3, vcc_lo
	global_store_b32 v[0:1], v2, off
.LBB0_2:
	s_nop 0
	s_sendmsg sendmsg(MSG_DEALLOC_VGPRS)
	s_endpgm
	.section	.rodata,"a",@progbits
	.p2align	6, 0x0
	.amdhsa_kernel _Z7extractlPf
		.amdhsa_group_segment_fixed_size 0
		.amdhsa_private_segment_fixed_size 0
		.amdhsa_kernarg_size 16
		.amdhsa_user_sgpr_count 15
		.amdhsa_user_sgpr_dispatch_ptr 0
		.amdhsa_user_sgpr_queue_ptr 0
		.amdhsa_user_sgpr_kernarg_segment_ptr 1
		.amdhsa_user_sgpr_dispatch_id 0
		.amdhsa_user_sgpr_private_segment_size 0
		.amdhsa_wavefront_size32 1
		.amdhsa_uses_dynamic_stack 0
		.amdhsa_enable_private_segment 0
		.amdhsa_system_sgpr_workgroup_id_x 1
		.amdhsa_system_sgpr_workgroup_id_y 0
		.amdhsa_system_sgpr_workgroup_id_z 0
		.amdhsa_system_sgpr_workgroup_info 0
		.amdhsa_system_vgpr_workitem_id 0
		.amdhsa_next_free_vgpr 8
		.amdhsa_next_free_sgpr 16
		.amdhsa_reserve_vcc 1
		.amdhsa_float_round_mode_32 0
		.amdhsa_float_round_mode_16_64 0
		.amdhsa_float_denorm_mode_32 3
		.amdhsa_float_denorm_mode_16_64 3
		.amdhsa_dx10_clamp 1
		.amdhsa_ieee_mode 1
		.amdhsa_fp16_overflow 0
		.amdhsa_workgroup_processor_mode 1
		.amdhsa_memory_ordered 1
		.amdhsa_forward_progress 0
		.amdhsa_shared_vgpr_count 0
		.amdhsa_exception_fp_ieee_invalid_op 0
		.amdhsa_exception_fp_denorm_src 0
		.amdhsa_exception_fp_ieee_div_zero 0
		.amdhsa_exception_fp_ieee_overflow 0
		.amdhsa_exception_fp_ieee_underflow 0
		.amdhsa_exception_fp_ieee_inexact 0
		.amdhsa_exception_int_div_zero 0
	.end_amdhsa_kernel
	.text
.Lfunc_end0:
	.size	_Z7extractlPf, .Lfunc_end0-_Z7extractlPf
                                        ; -- End function
	.section	.AMDGPU.csdata,"",@progbits
; Kernel info:
; codeLenInByte = 304
; NumSgprs: 18
; NumVgprs: 8
; ScratchSize: 0
; MemoryBound: 0
; FloatMode: 240
; IeeeMode: 1
; LDSByteSize: 0 bytes/workgroup (compile time only)
; SGPRBlocks: 2
; VGPRBlocks: 0
; NumSGPRsForWavesPerEU: 18
; NumVGPRsForWavesPerEU: 8
; Occupancy: 16
; WaveLimiterHint : 0
; COMPUTE_PGM_RSRC2:SCRATCH_EN: 0
; COMPUTE_PGM_RSRC2:USER_SGPR: 15
; COMPUTE_PGM_RSRC2:TRAP_HANDLER: 0
; COMPUTE_PGM_RSRC2:TGID_X_EN: 1
; COMPUTE_PGM_RSRC2:TGID_Y_EN: 0
; COMPUTE_PGM_RSRC2:TGID_Z_EN: 0
; COMPUTE_PGM_RSRC2:TIDIG_COMP_CNT: 0
	.text
	.protected	_Z7preparelPKfPfS1_     ; -- Begin function _Z7preparelPKfPfS1_
	.globl	_Z7preparelPKfPfS1_
	.p2align	8
	.type	_Z7preparelPKfPfS1_,@function
_Z7preparelPKfPfS1_:                    ; @_Z7preparelPKfPfS1_
; %bb.0:
	s_load_b256 s[0:7], s[0:1], 0x0
	v_lshl_add_u32 v0, s15, 8, v0
	s_delay_alu instid0(VALU_DEP_1) | instskip(SKIP_1) | instid1(VALU_DEP_1)
	v_ashrrev_i32_e32 v1, 31, v0
	s_waitcnt lgkmcnt(0)
	v_cmp_gt_i64_e32 vcc_lo, s[0:1], v[0:1]
	s_and_saveexec_b32 s0, vcc_lo
	s_cbranch_execz .LBB1_2
; %bb.1:
	v_lshlrev_b64 v[0:1], 2, v[0:1]
	s_delay_alu instid0(VALU_DEP_1) | instskip(NEXT) | instid1(VALU_DEP_2)
	v_add_co_u32 v2, vcc_lo, s2, v0
	v_add_co_ci_u32_e32 v3, vcc_lo, s3, v1, vcc_lo
	global_load_b32 v4, v[2:3], off
	v_add_co_u32 v2, vcc_lo, s4, v0
	v_add_co_ci_u32_e32 v3, vcc_lo, s5, v1, vcc_lo
	v_add_co_u32 v0, vcc_lo, s6, v0
	v_add_co_ci_u32_e32 v1, vcc_lo, s7, v1, vcc_lo
	s_waitcnt vmcnt(0)
	v_mul_f32_e32 v5, v4, v4
	global_store_b32 v[2:3], v4, off
	global_store_b32 v[0:1], v5, off
.LBB1_2:
	s_nop 0
	s_sendmsg sendmsg(MSG_DEALLOC_VGPRS)
	s_endpgm
	.section	.rodata,"a",@progbits
	.p2align	6, 0x0
	.amdhsa_kernel _Z7preparelPKfPfS1_
		.amdhsa_group_segment_fixed_size 0
		.amdhsa_private_segment_fixed_size 0
		.amdhsa_kernarg_size 32
		.amdhsa_user_sgpr_count 15
		.amdhsa_user_sgpr_dispatch_ptr 0
		.amdhsa_user_sgpr_queue_ptr 0
		.amdhsa_user_sgpr_kernarg_segment_ptr 1
		.amdhsa_user_sgpr_dispatch_id 0
		.amdhsa_user_sgpr_private_segment_size 0
		.amdhsa_wavefront_size32 1
		.amdhsa_uses_dynamic_stack 0
		.amdhsa_enable_private_segment 0
		.amdhsa_system_sgpr_workgroup_id_x 1
		.amdhsa_system_sgpr_workgroup_id_y 0
		.amdhsa_system_sgpr_workgroup_id_z 0
		.amdhsa_system_sgpr_workgroup_info 0
		.amdhsa_system_vgpr_workitem_id 0
		.amdhsa_next_free_vgpr 6
		.amdhsa_next_free_sgpr 16
		.amdhsa_reserve_vcc 1
		.amdhsa_float_round_mode_32 0
		.amdhsa_float_round_mode_16_64 0
		.amdhsa_float_denorm_mode_32 3
		.amdhsa_float_denorm_mode_16_64 3
		.amdhsa_dx10_clamp 1
		.amdhsa_ieee_mode 1
		.amdhsa_fp16_overflow 0
		.amdhsa_workgroup_processor_mode 1
		.amdhsa_memory_ordered 1
		.amdhsa_forward_progress 0
		.amdhsa_shared_vgpr_count 0
		.amdhsa_exception_fp_ieee_invalid_op 0
		.amdhsa_exception_fp_denorm_src 0
		.amdhsa_exception_fp_ieee_div_zero 0
		.amdhsa_exception_fp_ieee_overflow 0
		.amdhsa_exception_fp_ieee_underflow 0
		.amdhsa_exception_fp_ieee_inexact 0
		.amdhsa_exception_int_div_zero 0
	.end_amdhsa_kernel
	.text
.Lfunc_end1:
	.size	_Z7preparelPKfPfS1_, .Lfunc_end1-_Z7preparelPKfPfS1_
                                        ; -- End function
	.section	.AMDGPU.csdata,"",@progbits
; Kernel info:
; codeLenInByte = 132
; NumSgprs: 18
; NumVgprs: 6
; ScratchSize: 0
; MemoryBound: 0
; FloatMode: 240
; IeeeMode: 1
; LDSByteSize: 0 bytes/workgroup (compile time only)
; SGPRBlocks: 2
; VGPRBlocks: 0
; NumSGPRsForWavesPerEU: 18
; NumVGPRsForWavesPerEU: 6
; Occupancy: 16
; WaveLimiterHint : 0
; COMPUTE_PGM_RSRC2:SCRATCH_EN: 0
; COMPUTE_PGM_RSRC2:USER_SGPR: 15
; COMPUTE_PGM_RSRC2:TRAP_HANDLER: 0
; COMPUTE_PGM_RSRC2:TGID_X_EN: 1
; COMPUTE_PGM_RSRC2:TGID_Y_EN: 0
; COMPUTE_PGM_RSRC2:TGID_Z_EN: 0
; COMPUTE_PGM_RSRC2:TIDIG_COMP_CNT: 0
	.text
	.protected	_Z6reduceliiPfS_        ; -- Begin function _Z6reduceliiPfS_
	.globl	_Z6reduceliiPfS_
	.p2align	8
	.type	_Z6reduceliiPfS_,@function
_Z6reduceliiPfS_:                       ; @_Z6reduceliiPfS_
; %bb.0:
	s_clause 0x2
	s_load_b64 s[2:3], s[0:1], 0x8
	s_load_b128 s[4:7], s[0:1], 0x10
	s_load_b32 s0, s[0:1], 0x20
	s_lshl_b32 s8, s15, 8
	v_lshlrev_b32_e32 v3, 2, v0
	v_add_nc_u32_e32 v1, s8, v0
	s_mov_b32 s1, exec_lo
	s_waitcnt lgkmcnt(0)
	s_delay_alu instid0(VALU_DEP_1)
	v_cmpx_gt_i32_e64 s2, v1
	s_cbranch_execz .LBB2_2
; %bb.1:
	v_mul_lo_u32 v1, v1, s3
	s_delay_alu instid0(VALU_DEP_1) | instskip(NEXT) | instid1(VALU_DEP_1)
	v_ashrrev_i32_e32 v2, 31, v1
	v_lshlrev_b64 v[1:2], 2, v[1:2]
	s_delay_alu instid0(VALU_DEP_1) | instskip(NEXT) | instid1(VALU_DEP_2)
	v_add_co_u32 v4, vcc_lo, s4, v1
	v_add_co_ci_u32_e32 v5, vcc_lo, s5, v2, vcc_lo
	v_add_co_u32 v1, vcc_lo, s6, v1
	v_add_co_ci_u32_e32 v2, vcc_lo, s7, v2, vcc_lo
	global_load_b32 v4, v[4:5], off
	global_load_b32 v1, v[1:2], off
	s_waitcnt vmcnt(0)
	ds_store_2addr_stride64_b32 v3, v4, v1 offset1:4
.LBB2_2:
	s_or_b32 exec_lo, exec_lo, s1
	s_lshl_b32 s9, s0, 8
	s_waitcnt lgkmcnt(0)
	s_cmp_lg_u32 s2, s9
	s_barrier
	buffer_gl0_inv
	s_cbranch_scc0 .LBB2_23
; %bb.3:
	s_add_i32 s0, s0, -1
	s_mov_b32 s10, -1
	s_cmp_lg_u32 s15, s0
	s_cbranch_scc0 .LBB2_24
; %bb.4:
	v_and_b32_e32 v2, 1, v0
	v_add_nc_u32_e32 v1, 0x400, v3
	s_mov_b32 s0, exec_lo
	s_delay_alu instid0(VALU_DEP_2)
	v_cmpx_eq_u32_e32 1, v2
	s_cbranch_execz .LBB2_6
; %bb.5:
	v_add_nc_u32_e32 v2, -4, v3
	v_lshl_add_u32 v6, v0, 2, 0x3fc
	ds_load_2addr_b32 v[4:5], v2 offset1:1
	ds_load_2addr_b32 v[6:7], v6 offset1:1
	s_waitcnt lgkmcnt(1)
	v_add_f32_e32 v2, v5, v4
	s_waitcnt lgkmcnt(0)
	v_add_f32_e32 v4, v7, v6
	ds_store_b32 v3, v2
	ds_store_b32 v1, v4
.LBB2_6:
	s_or_b32 exec_lo, exec_lo, s0
	v_add_nc_u32_e32 v2, 1, v0
	s_mov_b32 s0, exec_lo
	s_waitcnt lgkmcnt(0)
	s_barrier
	buffer_gl0_inv
	v_and_b32_e32 v4, 3, v2
	s_delay_alu instid0(VALU_DEP_1)
	v_cmpx_eq_u32_e32 0, v4
	s_cbranch_execz .LBB2_8
; %bb.7:
	v_add_nc_u32_e32 v4, -8, v3
	ds_load_b32 v5, v3 offset:1016
	ds_load_b32 v6, v3
	ds_load_b32 v4, v4
	;; [unrolled: 1-line block ×3, first 2 shown]
	s_waitcnt lgkmcnt(0)
	v_dual_add_f32 v4, v6, v4 :: v_dual_add_f32 v5, v7, v5
	ds_store_b32 v3, v4
	ds_store_b32 v1, v5
.LBB2_8:
	s_or_b32 exec_lo, exec_lo, s0
	v_and_b32_e32 v4, 7, v2
	s_mov_b32 s0, exec_lo
	s_waitcnt lgkmcnt(0)
	s_barrier
	buffer_gl0_inv
	v_cmpx_eq_u32_e32 0, v4
	s_cbranch_execz .LBB2_10
; %bb.9:
	v_add_nc_u32_e32 v4, -16, v3
	ds_load_b32 v5, v3 offset:1008
	ds_load_b32 v6, v3
	ds_load_b32 v4, v4
	;; [unrolled: 1-line block ×3, first 2 shown]
	s_waitcnt lgkmcnt(0)
	v_dual_add_f32 v4, v6, v4 :: v_dual_add_f32 v5, v7, v5
	ds_store_b32 v3, v4
	ds_store_b32 v1, v5
.LBB2_10:
	s_or_b32 exec_lo, exec_lo, s0
	v_and_b32_e32 v4, 15, v2
	s_mov_b32 s0, exec_lo
	s_waitcnt lgkmcnt(0)
	s_barrier
	buffer_gl0_inv
	v_cmpx_eq_u32_e32 0, v4
	s_cbranch_execz .LBB2_12
; %bb.11:
	v_subrev_nc_u32_e32 v4, 32, v3
	ds_load_b32 v5, v3 offset:992
	ds_load_b32 v6, v3
	ds_load_b32 v4, v4
	;; [unrolled: 1-line block ×3, first 2 shown]
	s_waitcnt lgkmcnt(0)
	v_dual_add_f32 v4, v6, v4 :: v_dual_add_f32 v5, v7, v5
	ds_store_b32 v3, v4
	ds_store_b32 v1, v5
.LBB2_12:
	s_or_b32 exec_lo, exec_lo, s0
	v_and_b32_e32 v4, 31, v2
	s_mov_b32 s0, exec_lo
	s_waitcnt lgkmcnt(0)
	s_barrier
	buffer_gl0_inv
	v_cmpx_eq_u32_e32 0, v4
	s_cbranch_execz .LBB2_14
; %bb.13:
	v_subrev_nc_u32_e32 v4, 64, v3
	ds_load_b32 v5, v3 offset:960
	ds_load_b32 v6, v3
	ds_load_b32 v4, v4
	;; [unrolled: 1-line block ×3, first 2 shown]
	s_waitcnt lgkmcnt(0)
	v_dual_add_f32 v4, v6, v4 :: v_dual_add_f32 v5, v7, v5
	ds_store_b32 v3, v4
	ds_store_b32 v1, v5
.LBB2_14:
	s_or_b32 exec_lo, exec_lo, s0
	v_and_b32_e32 v4, 63, v2
	s_mov_b32 s0, exec_lo
	s_waitcnt lgkmcnt(0)
	s_barrier
	buffer_gl0_inv
	v_cmpx_eq_u32_e32 0, v4
	s_cbranch_execz .LBB2_16
; %bb.15:
	v_add_nc_u32_e32 v4, 0xffffff80, v3
	ds_load_b32 v5, v3 offset:896
	ds_load_b32 v6, v3
	ds_load_b32 v4, v4
	;; [unrolled: 1-line block ×3, first 2 shown]
	s_waitcnt lgkmcnt(0)
	v_dual_add_f32 v4, v6, v4 :: v_dual_add_f32 v5, v7, v5
	ds_store_b32 v3, v4
	ds_store_b32 v1, v5
.LBB2_16:
	s_or_b32 exec_lo, exec_lo, s0
	v_and_b32_e32 v4, 0x7f, v2
	s_mov_b32 s0, exec_lo
	s_waitcnt lgkmcnt(0)
	s_barrier
	buffer_gl0_inv
	v_cmpx_eq_u32_e32 0, v4
	s_cbranch_execz .LBB2_18
; %bb.17:
	v_add_nc_u32_e32 v4, 0xffffff00, v3
	ds_load_b32 v5, v3 offset:768
	ds_load_b32 v6, v3
	ds_load_b32 v4, v4
	ds_load_b32 v7, v1
	s_waitcnt lgkmcnt(0)
	v_dual_add_f32 v4, v6, v4 :: v_dual_add_f32 v5, v7, v5
	ds_store_b32 v3, v4
	ds_store_b32 v1, v5
.LBB2_18:
	s_or_b32 exec_lo, exec_lo, s0
	v_and_b32_e32 v2, 0xff, v2
	s_mov_b32 s12, 0
	s_mov_b32 s0, exec_lo
	s_waitcnt lgkmcnt(0)
	s_barrier
	buffer_gl0_inv
	v_cmpx_eq_u32_e32 0, v2
	s_cbranch_execz .LBB2_20
; %bb.19:
	v_add_nc_u32_e32 v2, 0xfffffe00, v3
	ds_load_b32 v4, v3 offset:512
	ds_load_b32 v5, v3
	ds_load_b32 v2, v2
	;; [unrolled: 1-line block ×3, first 2 shown]
	s_waitcnt lgkmcnt(1)
	v_add_f32_e32 v2, v5, v2
	s_waitcnt lgkmcnt(0)
	v_add_f32_e32 v4, v6, v4
	ds_store_b32 v3, v2
	ds_store_b32 v1, v4
.LBB2_20:
	s_or_b32 exec_lo, exec_lo, s0
	s_delay_alu instid0(SALU_CYCLE_1)
	s_mov_b32 s10, exec_lo
	s_waitcnt lgkmcnt(0)
	s_barrier
	buffer_gl0_inv
                                        ; implicit-def: $vgpr2
                                        ; implicit-def: $sgpr0_sgpr1
	v_cmpx_eq_u32_e32 0xff, v0
	s_xor_b32 s10, exec_lo, s10
	s_cbranch_execz .LBB2_22
; %bb.21:
	v_add_nc_u32_e64 v1, 0xfc, 0
	s_mul_i32 s0, s15, s3
	v_mov_b32_e32 v4, 0
	s_lshl_b32 s0, s0, 8
	s_mov_b32 s12, exec_lo
	ds_load_2addr_stride64_b32 v[1:2], v1 offset0:3 offset1:7
	s_ashr_i32 s1, s0, 31
	s_delay_alu instid0(SALU_CYCLE_1) | instskip(NEXT) | instid1(SALU_CYCLE_1)
	s_lshl_b64 s[16:17], s[0:1], 2
	s_add_u32 s16, s4, s16
	s_addc_u32 s17, s5, s17
	s_waitcnt lgkmcnt(0)
	global_store_b32 v4, v1, s[16:17]
.LBB2_22:
	s_or_b32 exec_lo, exec_lo, s10
	s_branch .LBB2_39
.LBB2_23:
	s_mov_b32 s12, 0
                                        ; implicit-def: $vgpr2
                                        ; implicit-def: $sgpr0_sgpr1
	s_cbranch_execnz .LBB2_40
	s_branch .LBB2_59
.LBB2_24:
	s_mov_b32 s12, 0
                                        ; implicit-def: $vgpr2
                                        ; implicit-def: $sgpr0_sgpr1
	s_and_b32 vcc_lo, exec_lo, s10
	s_cbranch_vccz .LBB2_39
; %bb.25:
	s_sub_i32 s0, s2, s9
	s_delay_alu instid0(SALU_CYCLE_1) | instskip(NEXT) | instid1(SALU_CYCLE_1)
	s_add_i32 s2, s0, 0x100
	s_cmp_gt_i32 s2, 1
	s_cselect_b32 s1, -1, 0
	s_delay_alu instid0(SALU_CYCLE_1) | instskip(NEXT) | instid1(VALU_DEP_1)
	v_cndmask_b32_e64 v1, 0, 1, s1
	v_readfirstlane_b32 s1, v1
	s_delay_alu instid0(VALU_DEP_1)
	s_lshl_b32 s1, s1, 1
	s_cmp_lt_i32 s2, 4
	s_cselect_b32 s1, s1, 4
	s_cmp_lt_i32 s2, 8
	s_cselect_b32 s1, s1, 8
	;; [unrolled: 2-line block ×5, first 2 shown]
	s_cmpk_lt_i32 s2, 0x80
	s_cselect_b32 s1, s1, 0x80
	s_cmp_gt_u32 s0, 0x7ffffeff
	s_cselect_b32 s9, s1, 0x100
	s_delay_alu instid0(SALU_CYCLE_1)
	s_cmp_gt_u32 s9, 1
	s_cbranch_scc0 .LBB2_30
; %bb.26:
	v_add_nc_u32_e32 v1, 1, v0
	v_cmp_gt_u32_e32 vcc_lo, s9, v0
	v_add_nc_u32_e32 v2, 0x400, v3
	s_mov_b32 s1, 2
	s_set_inst_prefetch_distance 0x1
	s_branch .LBB2_28
	.p2align	6
.LBB2_27:                               ;   in Loop: Header=BB2_28 Depth=1
	s_or_b32 exec_lo, exec_lo, s0
	s_lshl_b32 s1, s1, 1
	s_waitcnt lgkmcnt(0)
	s_waitcnt_vscnt null, 0x0
	s_cmp_le_i32 s1, s9
	s_barrier
	buffer_gl0_inv
	s_cbranch_scc0 .LBB2_30
.LBB2_28:                               ; =>This Inner Loop Header: Depth=1
	s_add_i32 s0, s1, -1
	s_delay_alu instid0(SALU_CYCLE_1) | instskip(NEXT) | instid1(VALU_DEP_1)
	v_and_b32_e32 v4, s0, v1
	v_cmp_eq_u32_e64 s0, 0, v4
	s_delay_alu instid0(VALU_DEP_1) | instskip(NEXT) | instid1(SALU_CYCLE_1)
	s_and_b32 s10, s0, vcc_lo
	s_and_saveexec_b32 s0, s10
	s_cbranch_execz .LBB2_27
; %bb.29:                               ;   in Loop: Header=BB2_28 Depth=1
	s_lshr_b32 s10, s1, 1
	s_delay_alu instid0(SALU_CYCLE_1) | instskip(NEXT) | instid1(VALU_DEP_1)
	v_subrev_nc_u32_e32 v4, s10, v0
	v_lshlrev_b32_e32 v4, 2, v4
	ds_load_2addr_stride64_b32 v[4:5], v4 offset1:4
	ds_load_b32 v6, v3
	ds_load_b32 v7, v2
	s_waitcnt lgkmcnt(0)
	v_dual_add_f32 v4, v6, v4 :: v_dual_add_f32 v5, v7, v5
	ds_store_b32 v3, v4
	ds_store_b32 v2, v5
	s_branch .LBB2_27
.LBB2_30:
	s_set_inst_prefetch_distance 0x2
	s_add_i32 s0, s9, -1
	s_mov_b32 s10, -1
	v_cmp_eq_u32_e32 vcc_lo, s0, v0
                                        ; implicit-def: $vgpr2
                                        ; implicit-def: $sgpr0_sgpr1
	s_and_saveexec_b32 s13, vcc_lo
	s_cbranch_execz .LBB2_38
; %bb.31:
	v_lshl_add_u32 v4, v0, 2, 0x400
	s_cmp_lt_i32 s9, s2
	s_cbranch_scc1 .LBB2_33
; %bb.32:
	ds_load_b32 v1, v3
	ds_load_b32 v2, v4
	s_cbranch_execz .LBB2_34
	s_branch .LBB2_37
.LBB2_33:
                                        ; implicit-def: $vgpr1
                                        ; implicit-def: $vgpr2
	s_and_not1_b32 vcc_lo, exec_lo, s10
	s_cbranch_vccnz .LBB2_37
.LBB2_34:
	s_waitcnt lgkmcnt(1)
	ds_load_b32 v1, v3
	s_waitcnt lgkmcnt(1)
	ds_load_b32 v2, v4
	s_add_i32 s0, s9, s8
	s_add_i32 s2, s2, s8
	s_ashr_i32 s1, s0, 31
	s_delay_alu instid0(SALU_CYCLE_1) | instskip(NEXT) | instid1(SALU_CYCLE_1)
	s_lshl_b64 s[10:11], s[0:1], 2
	s_add_u32 s8, s4, s10
	s_addc_u32 s9, s5, s11
	s_add_u32 s10, s6, s10
	s_addc_u32 s11, s7, s11
.LBB2_35:                               ; =>This Inner Loop Header: Depth=1
	s_load_b32 s1, s[8:9], 0x0
	s_load_b32 s14, s[10:11], 0x0
	s_add_i32 s0, s0, 1
	s_add_u32 s8, s8, 4
	s_addc_u32 s9, s9, 0
	s_add_u32 s10, s10, 4
	s_addc_u32 s11, s11, 0
	s_cmp_lt_i32 s0, s2
	s_waitcnt lgkmcnt(0)
	v_dual_add_f32 v1, s1, v1 :: v_dual_add_f32 v2, s14, v2
	s_cbranch_scc1 .LBB2_35
; %bb.36:
	ds_store_b32 v3, v1
	ds_store_b32 v4, v2
.LBB2_37:
	s_mul_i32 s0, s15, s3
	v_mov_b32_e32 v4, 0
	s_lshl_b32 s0, s0, 8
	s_delay_alu instid0(SALU_CYCLE_1) | instskip(NEXT) | instid1(SALU_CYCLE_1)
	s_ashr_i32 s1, s0, 31
	s_lshl_b64 s[8:9], s[0:1], 2
	s_delay_alu instid0(SALU_CYCLE_1)
	s_add_u32 s8, s4, s8
	s_addc_u32 s9, s5, s9
	s_or_b32 s12, s12, exec_lo
	s_waitcnt lgkmcnt(1)
	global_store_b32 v4, v1, s[8:9]
.LBB2_38:
	s_or_b32 exec_lo, exec_lo, s13
.LBB2_39:
	s_branch .LBB2_59
.LBB2_40:
	s_waitcnt lgkmcnt(0)
	v_and_b32_e32 v2, 1, v0
	v_add_nc_u32_e32 v1, 0x400, v3
	s_mov_b32 s0, exec_lo
	s_delay_alu instid0(VALU_DEP_2)
	v_cmpx_eq_u32_e32 1, v2
	s_cbranch_execz .LBB2_42
; %bb.41:
	v_add_nc_u32_e32 v2, -4, v3
	v_lshl_add_u32 v6, v0, 2, 0x3fc
	ds_load_2addr_b32 v[4:5], v2 offset1:1
	ds_load_2addr_b32 v[6:7], v6 offset1:1
	s_waitcnt lgkmcnt(1)
	v_add_f32_e32 v2, v5, v4
	s_waitcnt lgkmcnt(0)
	v_add_f32_e32 v4, v7, v6
	ds_store_b32 v3, v2
	ds_store_b32 v1, v4
.LBB2_42:
	s_or_b32 exec_lo, exec_lo, s0
	v_add_nc_u32_e32 v2, 1, v0
	s_mov_b32 s0, exec_lo
	s_waitcnt lgkmcnt(0)
	s_waitcnt_vscnt null, 0x0
	s_barrier
	buffer_gl0_inv
	v_and_b32_e32 v4, 3, v2
	s_delay_alu instid0(VALU_DEP_1)
	v_cmpx_eq_u32_e32 0, v4
	s_cbranch_execz .LBB2_44
; %bb.43:
	v_add_nc_u32_e32 v4, -8, v3
	ds_load_b32 v5, v3 offset:1016
	ds_load_b32 v6, v3
	ds_load_b32 v4, v4
	;; [unrolled: 1-line block ×3, first 2 shown]
	s_waitcnt lgkmcnt(0)
	v_dual_add_f32 v4, v6, v4 :: v_dual_add_f32 v5, v7, v5
	ds_store_b32 v3, v4
	ds_store_b32 v1, v5
.LBB2_44:
	s_or_b32 exec_lo, exec_lo, s0
	v_and_b32_e32 v4, 7, v2
	s_mov_b32 s0, exec_lo
	s_waitcnt lgkmcnt(0)
	s_barrier
	buffer_gl0_inv
	v_cmpx_eq_u32_e32 0, v4
	s_cbranch_execz .LBB2_46
; %bb.45:
	v_add_nc_u32_e32 v4, -16, v3
	ds_load_b32 v5, v3 offset:1008
	ds_load_b32 v6, v3
	ds_load_b32 v4, v4
	;; [unrolled: 1-line block ×3, first 2 shown]
	s_waitcnt lgkmcnt(0)
	v_dual_add_f32 v4, v6, v4 :: v_dual_add_f32 v5, v7, v5
	ds_store_b32 v3, v4
	ds_store_b32 v1, v5
.LBB2_46:
	s_or_b32 exec_lo, exec_lo, s0
	v_and_b32_e32 v4, 15, v2
	s_mov_b32 s0, exec_lo
	s_waitcnt lgkmcnt(0)
	s_barrier
	buffer_gl0_inv
	v_cmpx_eq_u32_e32 0, v4
	s_cbranch_execz .LBB2_48
; %bb.47:
	v_subrev_nc_u32_e32 v4, 32, v3
	ds_load_b32 v5, v3 offset:992
	ds_load_b32 v6, v3
	ds_load_b32 v4, v4
	ds_load_b32 v7, v1
	s_waitcnt lgkmcnt(0)
	v_dual_add_f32 v4, v6, v4 :: v_dual_add_f32 v5, v7, v5
	ds_store_b32 v3, v4
	ds_store_b32 v1, v5
.LBB2_48:
	s_or_b32 exec_lo, exec_lo, s0
	v_and_b32_e32 v4, 31, v2
	s_mov_b32 s0, exec_lo
	s_waitcnt lgkmcnt(0)
	s_barrier
	buffer_gl0_inv
	v_cmpx_eq_u32_e32 0, v4
	s_cbranch_execz .LBB2_50
; %bb.49:
	v_subrev_nc_u32_e32 v4, 64, v3
	ds_load_b32 v5, v3 offset:960
	ds_load_b32 v6, v3
	ds_load_b32 v4, v4
	;; [unrolled: 1-line block ×3, first 2 shown]
	s_waitcnt lgkmcnt(0)
	v_dual_add_f32 v4, v6, v4 :: v_dual_add_f32 v5, v7, v5
	ds_store_b32 v3, v4
	ds_store_b32 v1, v5
.LBB2_50:
	s_or_b32 exec_lo, exec_lo, s0
	v_and_b32_e32 v4, 63, v2
	s_mov_b32 s0, exec_lo
	s_waitcnt lgkmcnt(0)
	s_barrier
	buffer_gl0_inv
	v_cmpx_eq_u32_e32 0, v4
	s_cbranch_execz .LBB2_52
; %bb.51:
	v_add_nc_u32_e32 v4, 0xffffff80, v3
	ds_load_b32 v5, v3 offset:896
	ds_load_b32 v6, v3
	ds_load_b32 v4, v4
	ds_load_b32 v7, v1
	s_waitcnt lgkmcnt(0)
	v_dual_add_f32 v4, v6, v4 :: v_dual_add_f32 v5, v7, v5
	ds_store_b32 v3, v4
	ds_store_b32 v1, v5
.LBB2_52:
	s_or_b32 exec_lo, exec_lo, s0
	v_and_b32_e32 v4, 0x7f, v2
	s_mov_b32 s0, exec_lo
	s_waitcnt lgkmcnt(0)
	s_barrier
	buffer_gl0_inv
	v_cmpx_eq_u32_e32 0, v4
	s_cbranch_execz .LBB2_54
; %bb.53:
	v_add_nc_u32_e32 v4, 0xffffff00, v3
	ds_load_b32 v5, v3 offset:768
	ds_load_b32 v6, v3
	ds_load_b32 v4, v4
	;; [unrolled: 1-line block ×3, first 2 shown]
	s_waitcnt lgkmcnt(0)
	v_dual_add_f32 v4, v6, v4 :: v_dual_add_f32 v5, v7, v5
	ds_store_b32 v3, v4
	ds_store_b32 v1, v5
.LBB2_54:
	s_or_b32 exec_lo, exec_lo, s0
	v_and_b32_e32 v2, 0xff, v2
	s_mov_b32 s0, exec_lo
	s_waitcnt lgkmcnt(0)
	s_barrier
	buffer_gl0_inv
	v_cmpx_eq_u32_e32 0, v2
	s_cbranch_execz .LBB2_56
; %bb.55:
	v_add_nc_u32_e32 v2, 0xfffffe00, v3
	ds_load_b32 v4, v3 offset:512
	ds_load_b32 v5, v3
	ds_load_b32 v2, v2
	;; [unrolled: 1-line block ×3, first 2 shown]
	s_waitcnt lgkmcnt(1)
	v_add_f32_e32 v2, v5, v2
	s_waitcnt lgkmcnt(0)
	v_add_f32_e32 v4, v6, v4
	ds_store_b32 v3, v2
	ds_store_b32 v1, v4
.LBB2_56:
	s_or_b32 exec_lo, exec_lo, s0
	s_delay_alu instid0(SALU_CYCLE_1)
	s_mov_b32 s2, exec_lo
	s_waitcnt lgkmcnt(0)
	s_barrier
	buffer_gl0_inv
                                        ; implicit-def: $vgpr2
                                        ; implicit-def: $sgpr0_sgpr1
	v_cmpx_eq_u32_e32 0xff, v0
	s_cbranch_execz .LBB2_58
; %bb.57:
	v_add_nc_u32_e64 v0, 0xfc, 0
	s_mul_i32 s15, s15, s3
	s_delay_alu instid0(SALU_CYCLE_1) | instskip(NEXT) | instid1(SALU_CYCLE_1)
	s_lshl_b32 s0, s15, 8
	s_ashr_i32 s1, s0, 31
	ds_load_2addr_stride64_b32 v[1:2], v0 offset0:3 offset1:7
	v_mov_b32_e32 v0, 0
	s_lshl_b64 s[8:9], s[0:1], 2
	s_delay_alu instid0(SALU_CYCLE_1)
	s_add_u32 s4, s4, s8
	s_addc_u32 s5, s5, s9
	s_or_b32 s12, s12, exec_lo
	s_waitcnt lgkmcnt(0)
	global_store_b32 v0, v1, s[4:5]
.LBB2_58:
	s_or_b32 exec_lo, exec_lo, s2
.LBB2_59:
	s_and_saveexec_b32 s2, s12
	s_cbranch_execnz .LBB2_61
; %bb.60:
	s_nop 0
	s_sendmsg sendmsg(MSG_DEALLOC_VGPRS)
	s_endpgm
.LBB2_61:
	s_lshl_b64 s[0:1], s[0:1], 2
	v_mov_b32_e32 v0, 0
	s_add_u32 s0, s6, s0
	s_addc_u32 s1, s7, s1
	s_waitcnt lgkmcnt(0)
	global_store_b32 v0, v2, s[0:1]
	s_nop 0
	s_sendmsg sendmsg(MSG_DEALLOC_VGPRS)
	s_endpgm
	.section	.rodata,"a",@progbits
	.p2align	6, 0x0
	.amdhsa_kernel _Z6reduceliiPfS_
		.amdhsa_group_segment_fixed_size 2048
		.amdhsa_private_segment_fixed_size 0
		.amdhsa_kernarg_size 288
		.amdhsa_user_sgpr_count 15
		.amdhsa_user_sgpr_dispatch_ptr 0
		.amdhsa_user_sgpr_queue_ptr 0
		.amdhsa_user_sgpr_kernarg_segment_ptr 1
		.amdhsa_user_sgpr_dispatch_id 0
		.amdhsa_user_sgpr_private_segment_size 0
		.amdhsa_wavefront_size32 1
		.amdhsa_uses_dynamic_stack 0
		.amdhsa_enable_private_segment 0
		.amdhsa_system_sgpr_workgroup_id_x 1
		.amdhsa_system_sgpr_workgroup_id_y 0
		.amdhsa_system_sgpr_workgroup_id_z 0
		.amdhsa_system_sgpr_workgroup_info 0
		.amdhsa_system_vgpr_workitem_id 0
		.amdhsa_next_free_vgpr 8
		.amdhsa_next_free_sgpr 18
		.amdhsa_reserve_vcc 1
		.amdhsa_float_round_mode_32 0
		.amdhsa_float_round_mode_16_64 0
		.amdhsa_float_denorm_mode_32 3
		.amdhsa_float_denorm_mode_16_64 3
		.amdhsa_dx10_clamp 1
		.amdhsa_ieee_mode 1
		.amdhsa_fp16_overflow 0
		.amdhsa_workgroup_processor_mode 1
		.amdhsa_memory_ordered 1
		.amdhsa_forward_progress 0
		.amdhsa_shared_vgpr_count 0
		.amdhsa_exception_fp_ieee_invalid_op 0
		.amdhsa_exception_fp_denorm_src 0
		.amdhsa_exception_fp_ieee_div_zero 0
		.amdhsa_exception_fp_ieee_overflow 0
		.amdhsa_exception_fp_ieee_underflow 0
		.amdhsa_exception_fp_ieee_inexact 0
		.amdhsa_exception_int_div_zero 0
	.end_amdhsa_kernel
	.text
.Lfunc_end2:
	.size	_Z6reduceliiPfS_, .Lfunc_end2-_Z6reduceliiPfS_
                                        ; -- End function
	.section	.AMDGPU.csdata,"",@progbits
; Kernel info:
; codeLenInByte = 2740
; NumSgprs: 20
; NumVgprs: 8
; ScratchSize: 0
; MemoryBound: 0
; FloatMode: 240
; IeeeMode: 1
; LDSByteSize: 2048 bytes/workgroup (compile time only)
; SGPRBlocks: 2
; VGPRBlocks: 0
; NumSGPRsForWavesPerEU: 20
; NumVGPRsForWavesPerEU: 8
; Occupancy: 16
; WaveLimiterHint : 0
; COMPUTE_PGM_RSRC2:SCRATCH_EN: 0
; COMPUTE_PGM_RSRC2:USER_SGPR: 15
; COMPUTE_PGM_RSRC2:TRAP_HANDLER: 0
; COMPUTE_PGM_RSRC2:TGID_X_EN: 1
; COMPUTE_PGM_RSRC2:TGID_Y_EN: 0
; COMPUTE_PGM_RSRC2:TGID_Z_EN: 0
; COMPUTE_PGM_RSRC2:TIDIG_COMP_CNT: 0
	.text
	.protected	_Z4sradfiilPKiS0_S0_S0_PfS1_S1_S1_fS1_PKf ; -- Begin function _Z4sradfiilPKiS0_S0_S0_PfS1_S1_S1_fS1_PKf
	.globl	_Z4sradfiilPKiS0_S0_S0_PfS1_S1_S1_fS1_PKf
	.p2align	8
	.type	_Z4sradfiilPKiS0_S0_S0_PfS1_S1_S1_fS1_PKf,@function
_Z4sradfiilPKiS0_S0_S0_PfS1_S1_S1_fS1_PKf: ; @_Z4sradfiilPKiS0_S0_S0_PfS1_S1_S1_fS1_PKf
; %bb.0:
	s_load_b512 s[16:31], s[0:1], 0x10
	v_lshl_add_u32 v0, s15, 8, v0
	s_mov_b32 s2, exec_lo
	s_delay_alu instid0(VALU_DEP_1) | instskip(SKIP_1) | instid1(VALU_DEP_1)
	v_ashrrev_i32_e32 v1, 31, v0
	s_waitcnt lgkmcnt(0)
	v_cmpx_gt_i64_e64 s[16:17], v[0:1]
	s_cbranch_execz .LBB3_6
; %bb.1:
	s_clause 0x2
	s_load_b32 s2, s[0:1], 0x4
	s_load_b32 s3, s[0:1], 0x58
	s_load_b128 s[4:7], s[0:1], 0x60
	v_add_nc_u32_e32 v4, 1, v0
	v_lshlrev_b64 v[0:1], 2, v[0:1]
	s_delay_alu instid0(VALU_DEP_2) | instskip(NEXT) | instid1(VALU_DEP_1)
	v_sub_nc_u32_e32 v5, 0, v4
	v_max_i32_e32 v5, v4, v5
	s_waitcnt lgkmcnt(0)
	s_abs_i32 s8, s2
	s_delay_alu instid0(SALU_CYCLE_1) | instskip(SKIP_1) | instid1(VALU_DEP_1)
	v_cvt_f32_u32_e32 v2, s8
	s_sub_i32 s9, 0, s8
	v_rcp_iflag_f32_e32 v2, v2
	s_waitcnt_depctr 0xfff
	v_mul_f32_e32 v2, 0x4f7ffffe, v2
	s_delay_alu instid0(VALU_DEP_1) | instskip(NEXT) | instid1(VALU_DEP_1)
	v_cvt_u32_f32_e32 v2, v2
	v_mul_lo_u32 v3, s9, v2
	s_delay_alu instid0(VALU_DEP_1) | instskip(NEXT) | instid1(VALU_DEP_1)
	v_mul_hi_u32 v3, v2, v3
	v_add_nc_u32_e32 v2, v2, v3
	s_delay_alu instid0(VALU_DEP_1) | instskip(NEXT) | instid1(VALU_DEP_1)
	v_mul_hi_u32 v2, v5, v2
	v_mul_lo_u32 v3, v2, s8
	s_delay_alu instid0(VALU_DEP_1) | instskip(SKIP_1) | instid1(VALU_DEP_2)
	v_sub_nc_u32_e32 v3, v5, v3
	v_add_nc_u32_e32 v5, 1, v2
	v_subrev_nc_u32_e32 v6, s8, v3
	v_cmp_le_u32_e32 vcc_lo, s8, v3
	s_delay_alu instid0(VALU_DEP_2) | instskip(SKIP_1) | instid1(VALU_DEP_2)
	v_dual_cndmask_b32 v2, v2, v5 :: v_dual_cndmask_b32 v3, v3, v6
	v_xor_b32_e32 v5, s2, v4
	v_add_nc_u32_e32 v6, 1, v2
	s_delay_alu instid0(VALU_DEP_3) | instskip(NEXT) | instid1(VALU_DEP_3)
	v_cmp_le_u32_e32 vcc_lo, s8, v3
	v_ashrrev_i32_e32 v5, 31, v5
	s_delay_alu instid0(VALU_DEP_3) | instskip(NEXT) | instid1(VALU_DEP_1)
	v_cndmask_b32_e32 v2, v2, v6, vcc_lo
	v_xor_b32_e32 v6, v2, v5
	s_delay_alu instid0(VALU_DEP_1) | instskip(NEXT) | instid1(VALU_DEP_1)
	v_sub_nc_u32_e32 v2, v6, v5
	v_mul_lo_u32 v2, v2, s2
	s_delay_alu instid0(VALU_DEP_1) | instskip(NEXT) | instid1(VALU_DEP_1)
	v_sub_nc_u32_e32 v2, v4, v2
	v_cmp_eq_u32_e32 vcc_lo, 0, v2
	v_cndmask_b32_e64 v2, v2, s2, vcc_lo
	v_sub_co_ci_u32_e32 v4, vcc_lo, v6, v5, vcc_lo
	s_delay_alu instid0(VALU_DEP_2) | instskip(NEXT) | instid1(VALU_DEP_2)
	v_ashrrev_i32_e32 v3, 31, v2
	v_ashrrev_i32_e32 v5, 31, v4
	s_delay_alu instid0(VALU_DEP_2) | instskip(NEXT) | instid1(VALU_DEP_2)
	v_lshlrev_b64 v[6:7], 2, v[2:3]
	v_lshlrev_b64 v[10:11], 2, v[4:5]
	s_delay_alu instid0(VALU_DEP_2) | instskip(NEXT) | instid1(VALU_DEP_3)
	v_add_co_u32 v8, vcc_lo, s18, v6
	v_add_co_ci_u32_e32 v9, vcc_lo, s19, v7, vcc_lo
	v_add_co_u32 v6, vcc_lo, s20, v6
	v_add_co_ci_u32_e32 v7, vcc_lo, s21, v7, vcc_lo
	global_load_b32 v9, v[8:9], off offset:-4
	global_load_b32 v12, v[6:7], off offset:-4
	v_add_co_u32 v5, vcc_lo, s24, v10
	v_add_co_ci_u32_e32 v6, vcc_lo, s25, v11, vcc_lo
	v_add_co_u32 v7, vcc_lo, s22, v10
	v_add_co_ci_u32_e32 v8, vcc_lo, s23, v11, vcc_lo
	global_load_b32 v10, v[5:6], off
	global_load_b32 v8, v[7:8], off
	v_mul_lo_u32 v5, v4, s2
	s_waitcnt vmcnt(3)
	s_delay_alu instid0(VALU_DEP_1) | instskip(SKIP_2) | instid1(VALU_DEP_2)
	v_add_nc_u32_e32 v4, v5, v9
	s_waitcnt vmcnt(2)
	v_add_nc_u32_e32 v6, v12, v5
	v_ashrrev_i32_e32 v5, 31, v4
	s_delay_alu instid0(VALU_DEP_2) | instskip(NEXT) | instid1(VALU_DEP_2)
	v_ashrrev_i32_e32 v7, 31, v6
	v_lshlrev_b64 v[4:5], 2, v[4:5]
	s_waitcnt vmcnt(1)
	v_mul_lo_u32 v10, v10, s2
	s_waitcnt vmcnt(0)
	v_mul_lo_u32 v12, v8, s2
	v_add_co_u32 v8, vcc_lo, s6, v0
	v_lshlrev_b64 v[6:7], 2, v[6:7]
	v_add_co_ci_u32_e32 v9, vcc_lo, s7, v1, vcc_lo
	v_add_co_u32 v4, vcc_lo, s6, v4
	v_add_co_ci_u32_e32 v5, vcc_lo, s7, v5, vcc_lo
	v_ashrrev_i32_e32 v11, 31, v10
	v_add_co_u32 v6, vcc_lo, s6, v6
	v_add_co_ci_u32_e32 v7, vcc_lo, s7, v7, vcc_lo
	v_ashrrev_i32_e32 v13, 31, v12
	v_add_co_u32 v10, vcc_lo, v10, v2
	v_add_co_ci_u32_e32 v11, vcc_lo, v11, v3, vcc_lo
	v_add_co_u32 v2, vcc_lo, v12, v2
	s_delay_alu instid0(VALU_DEP_4) | instskip(NEXT) | instid1(VALU_DEP_3)
	v_add_co_ci_u32_e32 v3, vcc_lo, v13, v3, vcc_lo
	v_lshlrev_b64 v[10:11], 2, v[10:11]
	s_clause 0x2
	global_load_b32 v8, v[8:9], off
	global_load_b32 v6, v[6:7], off
	;; [unrolled: 1-line block ×3, first 2 shown]
	v_lshlrev_b64 v[2:3], 2, v[2:3]
	v_add_co_u32 v4, vcc_lo, s6, v10
	v_add_co_ci_u32_e32 v5, vcc_lo, s7, v11, vcc_lo
	s_delay_alu instid0(VALU_DEP_3) | instskip(NEXT) | instid1(VALU_DEP_4)
	v_add_co_u32 v2, vcc_lo, s6, v2
	v_add_co_ci_u32_e32 v3, vcc_lo, s7, v3, vcc_lo
	s_clause 0x1
	global_load_b32 v4, v[4:5], off offset:-4
	global_load_b32 v5, v[2:3], off offset:-4
	s_waitcnt vmcnt(4)
	v_mul_f32_e32 v9, v8, v8
	s_waitcnt vmcnt(3)
	v_sub_f32_e32 v2, v6, v8
	s_waitcnt vmcnt(2)
	v_sub_f32_e32 v3, v7, v8
	s_waitcnt vmcnt(1)
	s_delay_alu instid0(VALU_DEP_1) | instskip(SKIP_2) | instid1(VALU_DEP_2)
	v_dual_add_f32 v7, v3, v2 :: v_dual_sub_f32 v4, v4, v8
	s_waitcnt vmcnt(0)
	v_sub_f32_e32 v5, v5, v8
	v_add_f32_e32 v7, v7, v4
	s_delay_alu instid0(VALU_DEP_1) | instskip(NEXT) | instid1(VALU_DEP_1)
	v_add_f32_e32 v7, v7, v5
	v_div_scale_f32 v11, null, v8, v8, v7
	s_delay_alu instid0(VALU_DEP_1) | instskip(SKIP_2) | instid1(VALU_DEP_1)
	v_rcp_f32_e32 v13, v11
	s_waitcnt_depctr 0xfff
	v_fma_f32 v15, -v11, v13, 1.0
	v_dual_mul_f32 v6, v2, v2 :: v_dual_fmac_f32 v13, v15, v13
	s_delay_alu instid0(VALU_DEP_1) | instskip(NEXT) | instid1(VALU_DEP_1)
	v_fmac_f32_e32 v6, v3, v3
	v_fmac_f32_e32 v6, v4, v4
	s_delay_alu instid0(VALU_DEP_1) | instskip(NEXT) | instid1(VALU_DEP_1)
	v_fmac_f32_e32 v6, v5, v5
	v_div_scale_f32 v10, null, v9, v9, v6
	v_div_scale_f32 v16, vcc_lo, v6, v9, v6
	s_delay_alu instid0(VALU_DEP_2) | instskip(SKIP_2) | instid1(VALU_DEP_1)
	v_rcp_f32_e32 v12, v10
	s_waitcnt_depctr 0xfff
	v_fma_f32 v14, -v10, v12, 1.0
	v_fmac_f32_e32 v12, v14, v12
	v_div_scale_f32 v14, s2, v7, v8, v7
	s_delay_alu instid0(VALU_DEP_2) | instskip(NEXT) | instid1(VALU_DEP_2)
	v_mul_f32_e32 v15, v16, v12
	v_mul_f32_e32 v17, v14, v13
	s_delay_alu instid0(VALU_DEP_2) | instskip(NEXT) | instid1(VALU_DEP_2)
	v_fma_f32 v18, -v10, v15, v16
	v_fma_f32 v19, -v11, v17, v14
	s_delay_alu instid0(VALU_DEP_2) | instskip(NEXT) | instid1(VALU_DEP_2)
	v_fmac_f32_e32 v15, v18, v12
	v_fmac_f32_e32 v17, v19, v13
	s_delay_alu instid0(VALU_DEP_2) | instskip(NEXT) | instid1(VALU_DEP_2)
	v_fma_f32 v10, -v10, v15, v16
	v_fma_f32 v11, -v11, v17, v14
	s_delay_alu instid0(VALU_DEP_2) | instskip(SKIP_2) | instid1(VALU_DEP_2)
	v_div_fmas_f32 v10, v10, v12, v15
	s_mov_b32 vcc_lo, s2
	s_mov_b32 s2, exec_lo
	v_div_fmas_f32 v11, v11, v13, v17
	s_delay_alu instid0(VALU_DEP_1) | instskip(NEXT) | instid1(VALU_DEP_1)
	v_div_fixup_f32 v7, v11, v8, v7
	v_dual_mov_b32 v8, 1.0 :: v_dual_mul_f32 v11, v7, v7
	v_div_fixup_f32 v6, v10, v9, v6
	s_delay_alu instid0(VALU_DEP_2) | instskip(NEXT) | instid1(VALU_DEP_3)
	v_fmamk_f32 v7, v7, 0x3e800000, v8
	v_mul_f32_e32 v8, 0xbd800000, v11
	s_delay_alu instid0(VALU_DEP_1) | instskip(NEXT) | instid1(VALU_DEP_1)
	v_dual_mul_f32 v7, v7, v7 :: v_dual_fmac_f32 v8, 0.5, v6
	v_div_scale_f32 v6, null, v7, v7, v8
	v_div_scale_f32 v11, vcc_lo, v8, v7, v8
	s_delay_alu instid0(VALU_DEP_2) | instskip(SKIP_2) | instid1(VALU_DEP_1)
	v_rcp_f32_e32 v9, v6
	s_waitcnt_depctr 0xfff
	v_fma_f32 v10, -v6, v9, 1.0
	v_fmac_f32_e32 v9, v10, v9
	s_delay_alu instid0(VALU_DEP_1) | instskip(NEXT) | instid1(VALU_DEP_1)
	v_mul_f32_e32 v10, v11, v9
	v_fma_f32 v12, -v6, v10, v11
	s_delay_alu instid0(VALU_DEP_1) | instskip(NEXT) | instid1(VALU_DEP_1)
	v_fmac_f32_e32 v10, v12, v9
	v_fma_f32 v6, -v6, v10, v11
	s_delay_alu instid0(VALU_DEP_1) | instskip(SKIP_1) | instid1(VALU_DEP_2)
	v_div_fmas_f32 v6, v6, v9, v10
	v_add_f32_e64 v9, s3, 1.0
	v_div_fixup_f32 v6, v6, v7, v8
	s_delay_alu instid0(VALU_DEP_1) | instskip(NEXT) | instid1(VALU_DEP_1)
	v_dual_mul_f32 v7, s3, v9 :: v_dual_subrev_f32 v6, s3, v6
	v_div_scale_f32 v8, null, v7, v7, v6
	v_div_scale_f32 v11, vcc_lo, v6, v7, v6
	s_delay_alu instid0(VALU_DEP_2) | instskip(SKIP_2) | instid1(VALU_DEP_1)
	v_rcp_f32_e32 v9, v8
	s_waitcnt_depctr 0xfff
	v_fma_f32 v10, -v8, v9, 1.0
	v_fmac_f32_e32 v9, v10, v9
	s_delay_alu instid0(VALU_DEP_1) | instskip(NEXT) | instid1(VALU_DEP_1)
	v_mul_f32_e32 v10, v11, v9
	v_fma_f32 v12, -v8, v10, v11
	s_delay_alu instid0(VALU_DEP_1) | instskip(NEXT) | instid1(VALU_DEP_1)
	v_fmac_f32_e32 v10, v12, v9
	v_fma_f32 v8, -v8, v10, v11
	s_delay_alu instid0(VALU_DEP_1) | instskip(NEXT) | instid1(VALU_DEP_1)
	v_div_fmas_f32 v8, v8, v9, v10
	v_div_fixup_f32 v6, v8, v7, v6
	s_delay_alu instid0(VALU_DEP_1) | instskip(NEXT) | instid1(VALU_DEP_1)
	v_add_f32_e32 v6, 1.0, v6
	v_div_scale_f32 v7, null, v6, v6, 1.0
	v_div_scale_f32 v10, vcc_lo, 1.0, v6, 1.0
	s_delay_alu instid0(VALU_DEP_2) | instskip(SKIP_2) | instid1(VALU_DEP_1)
	v_rcp_f32_e32 v8, v7
	s_waitcnt_depctr 0xfff
	v_fma_f32 v9, -v7, v8, 1.0
	v_fmac_f32_e32 v8, v9, v8
	s_delay_alu instid0(VALU_DEP_1) | instskip(NEXT) | instid1(VALU_DEP_1)
	v_mul_f32_e32 v9, v10, v8
	v_fma_f32 v11, -v7, v9, v10
	s_delay_alu instid0(VALU_DEP_1) | instskip(NEXT) | instid1(VALU_DEP_1)
	v_fmac_f32_e32 v9, v11, v8
	v_fma_f32 v7, -v7, v9, v10
	s_delay_alu instid0(VALU_DEP_1) | instskip(NEXT) | instid1(VALU_DEP_1)
	v_div_fmas_f32 v7, v7, v8, v9
	v_div_fixup_f32 v7, v7, v6, 1.0
	v_mov_b32_e32 v6, 0
	s_delay_alu instid0(VALU_DEP_2)
	v_cmpx_ngt_f32_e32 0, v7
	s_cbranch_execz .LBB3_5
; %bb.2:
	s_mov_b32 s3, exec_lo
	v_cmpx_lt_f32_e32 1.0, v7
; %bb.3:
	v_mov_b32_e32 v7, 1.0
; %bb.4:
	s_or_b32 exec_lo, exec_lo, s3
	s_delay_alu instid0(VALU_DEP_1)
	v_mov_b32_e32 v6, v7
.LBB3_5:
	s_or_b32 exec_lo, exec_lo, s2
	s_load_b64 s[0:1], s[0:1], 0x50
	v_add_co_u32 v7, vcc_lo, s26, v0
	v_add_co_ci_u32_e32 v8, vcc_lo, s27, v1, vcc_lo
	v_add_co_u32 v9, vcc_lo, s28, v0
	v_add_co_ci_u32_e32 v10, vcc_lo, s29, v1, vcc_lo
	;; [unrolled: 2-line block ×3, first 2 shown]
	s_waitcnt lgkmcnt(0)
	v_add_co_u32 v13, vcc_lo, s0, v0
	v_add_co_ci_u32_e32 v14, vcc_lo, s1, v1, vcc_lo
	v_add_co_u32 v0, vcc_lo, s4, v0
	v_add_co_ci_u32_e32 v1, vcc_lo, s5, v1, vcc_lo
	global_store_b32 v[7:8], v3, off
	global_store_b32 v[9:10], v2, off
	;; [unrolled: 1-line block ×5, first 2 shown]
.LBB3_6:
	s_nop 0
	s_sendmsg sendmsg(MSG_DEALLOC_VGPRS)
	s_endpgm
	.section	.rodata,"a",@progbits
	.p2align	6, 0x0
	.amdhsa_kernel _Z4sradfiilPKiS0_S0_S0_PfS1_S1_S1_fS1_PKf
		.amdhsa_group_segment_fixed_size 0
		.amdhsa_private_segment_fixed_size 0
		.amdhsa_kernarg_size 112
		.amdhsa_user_sgpr_count 15
		.amdhsa_user_sgpr_dispatch_ptr 0
		.amdhsa_user_sgpr_queue_ptr 0
		.amdhsa_user_sgpr_kernarg_segment_ptr 1
		.amdhsa_user_sgpr_dispatch_id 0
		.amdhsa_user_sgpr_private_segment_size 0
		.amdhsa_wavefront_size32 1
		.amdhsa_uses_dynamic_stack 0
		.amdhsa_enable_private_segment 0
		.amdhsa_system_sgpr_workgroup_id_x 1
		.amdhsa_system_sgpr_workgroup_id_y 0
		.amdhsa_system_sgpr_workgroup_id_z 0
		.amdhsa_system_sgpr_workgroup_info 0
		.amdhsa_system_vgpr_workitem_id 0
		.amdhsa_next_free_vgpr 20
		.amdhsa_next_free_sgpr 32
		.amdhsa_reserve_vcc 1
		.amdhsa_float_round_mode_32 0
		.amdhsa_float_round_mode_16_64 0
		.amdhsa_float_denorm_mode_32 3
		.amdhsa_float_denorm_mode_16_64 3
		.amdhsa_dx10_clamp 1
		.amdhsa_ieee_mode 1
		.amdhsa_fp16_overflow 0
		.amdhsa_workgroup_processor_mode 1
		.amdhsa_memory_ordered 1
		.amdhsa_forward_progress 0
		.amdhsa_shared_vgpr_count 0
		.amdhsa_exception_fp_ieee_invalid_op 0
		.amdhsa_exception_fp_denorm_src 0
		.amdhsa_exception_fp_ieee_div_zero 0
		.amdhsa_exception_fp_ieee_overflow 0
		.amdhsa_exception_fp_ieee_underflow 0
		.amdhsa_exception_fp_ieee_inexact 0
		.amdhsa_exception_int_div_zero 0
	.end_amdhsa_kernel
	.text
.Lfunc_end3:
	.size	_Z4sradfiilPKiS0_S0_S0_PfS1_S1_S1_fS1_PKf, .Lfunc_end3-_Z4sradfiilPKiS0_S0_S0_PfS1_S1_S1_fS1_PKf
                                        ; -- End function
	.section	.AMDGPU.csdata,"",@progbits
; Kernel info:
; codeLenInByte = 1436
; NumSgprs: 34
; NumVgprs: 20
; ScratchSize: 0
; MemoryBound: 0
; FloatMode: 240
; IeeeMode: 1
; LDSByteSize: 0 bytes/workgroup (compile time only)
; SGPRBlocks: 4
; VGPRBlocks: 2
; NumSGPRsForWavesPerEU: 34
; NumVGPRsForWavesPerEU: 20
; Occupancy: 16
; WaveLimiterHint : 1
; COMPUTE_PGM_RSRC2:SCRATCH_EN: 0
; COMPUTE_PGM_RSRC2:USER_SGPR: 15
; COMPUTE_PGM_RSRC2:TRAP_HANDLER: 0
; COMPUTE_PGM_RSRC2:TGID_X_EN: 1
; COMPUTE_PGM_RSRC2:TGID_Y_EN: 0
; COMPUTE_PGM_RSRC2:TGID_Z_EN: 0
; COMPUTE_PGM_RSRC2:TIDIG_COMP_CNT: 0
	.text
	.protected	_Z5srad2fiilPKiS0_S0_S0_PKfS2_S2_S2_S2_Pf ; -- Begin function _Z5srad2fiilPKiS0_S0_S0_PKfS2_S2_S2_S2_Pf
	.globl	_Z5srad2fiilPKiS0_S0_S0_PKfS2_S2_S2_S2_Pf
	.p2align	8
	.type	_Z5srad2fiilPKiS0_S0_S0_PKfS2_S2_S2_S2_Pf,@function
_Z5srad2fiilPKiS0_S0_S0_PKfS2_S2_S2_S2_Pf: ; @_Z5srad2fiilPKiS0_S0_S0_PKfS2_S2_S2_S2_Pf
; %bb.0:
	s_load_b64 s[2:3], s[0:1], 0x10
	v_lshl_add_u32 v0, s15, 8, v0
	s_delay_alu instid0(VALU_DEP_1) | instskip(SKIP_1) | instid1(VALU_DEP_1)
	v_ashrrev_i32_e32 v1, 31, v0
	s_waitcnt lgkmcnt(0)
	v_cmp_gt_i64_e32 vcc_lo, s[2:3], v[0:1]
	s_and_saveexec_b32 s2, vcc_lo
	s_cbranch_execz .LBB4_2
; %bb.1:
	s_clause 0x1
	s_load_b64 s[12:13], s[0:1], 0x0
	s_load_b128 s[4:7], s[0:1], 0x20
	v_add_nc_u32_e32 v4, 1, v0
	v_lshlrev_b64 v[0:1], 2, v[0:1]
	s_delay_alu instid0(VALU_DEP_2) | instskip(NEXT) | instid1(VALU_DEP_1)
	v_sub_nc_u32_e32 v5, 0, v4
	v_max_i32_e32 v5, v4, v5
	s_waitcnt lgkmcnt(0)
	s_abs_i32 s2, s13
	s_delay_alu instid0(SALU_CYCLE_1) | instskip(SKIP_1) | instid1(VALU_DEP_1)
	v_cvt_f32_u32_e32 v2, s2
	s_sub_i32 s3, 0, s2
	v_rcp_iflag_f32_e32 v2, v2
	s_waitcnt_depctr 0xfff
	v_mul_f32_e32 v2, 0x4f7ffffe, v2
	s_delay_alu instid0(VALU_DEP_1) | instskip(NEXT) | instid1(VALU_DEP_1)
	v_cvt_u32_f32_e32 v2, v2
	v_mul_lo_u32 v3, s3, v2
	s_delay_alu instid0(VALU_DEP_1) | instskip(NEXT) | instid1(VALU_DEP_1)
	v_mul_hi_u32 v3, v2, v3
	v_add_nc_u32_e32 v2, v2, v3
	s_delay_alu instid0(VALU_DEP_1) | instskip(NEXT) | instid1(VALU_DEP_1)
	v_mul_hi_u32 v2, v5, v2
	v_mul_lo_u32 v3, v2, s2
	s_delay_alu instid0(VALU_DEP_1) | instskip(SKIP_1) | instid1(VALU_DEP_2)
	v_sub_nc_u32_e32 v3, v5, v3
	v_add_nc_u32_e32 v5, 1, v2
	v_subrev_nc_u32_e32 v6, s2, v3
	v_cmp_le_u32_e32 vcc_lo, s2, v3
	s_delay_alu instid0(VALU_DEP_2) | instskip(SKIP_1) | instid1(VALU_DEP_2)
	v_dual_cndmask_b32 v2, v2, v5 :: v_dual_cndmask_b32 v3, v3, v6
	v_xor_b32_e32 v5, s13, v4
	v_add_nc_u32_e32 v6, 1, v2
	s_delay_alu instid0(VALU_DEP_3) | instskip(NEXT) | instid1(VALU_DEP_3)
	v_cmp_le_u32_e32 vcc_lo, s2, v3
	v_ashrrev_i32_e32 v5, 31, v5
	s_delay_alu instid0(VALU_DEP_3) | instskip(NEXT) | instid1(VALU_DEP_1)
	v_cndmask_b32_e32 v2, v2, v6, vcc_lo
	v_xor_b32_e32 v6, v2, v5
	s_delay_alu instid0(VALU_DEP_1) | instskip(NEXT) | instid1(VALU_DEP_1)
	v_sub_nc_u32_e32 v2, v6, v5
	v_mul_lo_u32 v2, v2, s13
	s_delay_alu instid0(VALU_DEP_1) | instskip(NEXT) | instid1(VALU_DEP_1)
	v_sub_nc_u32_e32 v2, v4, v2
	v_cmp_eq_u32_e32 vcc_lo, 0, v2
	v_cndmask_b32_e64 v2, v2, s13, vcc_lo
	v_sub_co_ci_u32_e32 v4, vcc_lo, v6, v5, vcc_lo
	s_delay_alu instid0(VALU_DEP_2) | instskip(NEXT) | instid1(VALU_DEP_2)
	v_ashrrev_i32_e32 v3, 31, v2
	v_ashrrev_i32_e32 v5, 31, v4
	s_delay_alu instid0(VALU_DEP_2) | instskip(NEXT) | instid1(VALU_DEP_2)
	v_lshlrev_b64 v[6:7], 2, v[2:3]
	v_lshlrev_b64 v[8:9], 2, v[4:5]
	s_delay_alu instid0(VALU_DEP_2) | instskip(NEXT) | instid1(VALU_DEP_3)
	v_add_co_u32 v6, vcc_lo, s4, v6
	v_add_co_ci_u32_e32 v7, vcc_lo, s5, v7, vcc_lo
	global_load_b32 v5, v[6:7], off offset:-4
	v_add_co_u32 v6, vcc_lo, s6, v8
	v_add_co_ci_u32_e32 v7, vcc_lo, s7, v9, vcc_lo
	global_load_b32 v8, v[6:7], off
	s_clause 0x1
	s_load_b128 s[8:11], s[0:1], 0x58
	s_load_b256 s[0:7], s[0:1], 0x38
	s_waitcnt vmcnt(1)
	v_mad_u64_u32 v[6:7], null, v4, s13, v[5:6]
	s_waitcnt lgkmcnt(0)
	v_add_co_u32 v4, vcc_lo, s8, v0
	v_add_co_ci_u32_e32 v5, vcc_lo, s9, v1, vcc_lo
	s_waitcnt vmcnt(0)
	v_mul_lo_u32 v12, v8, s13
	s_delay_alu instid0(VALU_DEP_4)
	v_ashrrev_i32_e32 v7, 31, v6
	v_add_co_u32 v8, vcc_lo, s0, v0
	v_add_co_ci_u32_e32 v9, vcc_lo, s1, v1, vcc_lo
	v_add_co_u32 v10, vcc_lo, s2, v0
	v_ashrrev_i32_e32 v13, 31, v12
	v_lshlrev_b64 v[6:7], 2, v[6:7]
	v_add_co_ci_u32_e32 v11, vcc_lo, s3, v1, vcc_lo
	v_add_co_u32 v2, vcc_lo, v12, v2
	s_delay_alu instid0(VALU_DEP_4) | instskip(NEXT) | instid1(VALU_DEP_4)
	v_add_co_ci_u32_e32 v3, vcc_lo, v13, v3, vcc_lo
	v_add_co_u32 v6, vcc_lo, s8, v6
	v_add_co_ci_u32_e32 v7, vcc_lo, s9, v7, vcc_lo
	global_load_b32 v10, v[10:11], off
	v_add_co_u32 v12, vcc_lo, s6, v0
	global_load_b32 v11, v[6:7], off
	v_lshlrev_b64 v[2:3], 2, v[2:3]
	v_add_co_ci_u32_e32 v13, vcc_lo, s7, v1, vcc_lo
	v_add_co_u32 v6, vcc_lo, s4, v0
	global_load_b32 v4, v[4:5], off
	global_load_b32 v5, v[8:9], off
	v_add_co_ci_u32_e32 v7, vcc_lo, s5, v1, vcc_lo
	v_add_co_u32 v2, vcc_lo, s8, v2
	v_add_co_ci_u32_e32 v3, vcc_lo, s9, v3, vcc_lo
	global_load_b32 v8, v[12:13], off
	global_load_b32 v6, v[6:7], off
	global_load_b32 v2, v[2:3], off offset:-4
	v_add_co_u32 v0, vcc_lo, s10, v0
	v_add_co_ci_u32_e32 v1, vcc_lo, s11, v1, vcc_lo
	global_load_b32 v3, v[0:1], off
	s_waitcnt vmcnt(6)
	v_mul_f32_e32 v7, v11, v10
	s_waitcnt vmcnt(4)
	s_delay_alu instid0(VALU_DEP_1) | instskip(SKIP_1) | instid1(VALU_DEP_1)
	v_fmac_f32_e32 v7, v4, v5
	s_waitcnt vmcnt(3)
	v_fmac_f32_e32 v7, v4, v8
	s_waitcnt vmcnt(1)
	s_delay_alu instid0(VALU_DEP_1) | instskip(SKIP_2) | instid1(VALU_DEP_1)
	v_fmac_f32_e32 v7, v2, v6
	v_mul_f32_e64 v2, 0x3e800000, s12
	s_waitcnt vmcnt(0)
	v_fmac_f32_e32 v3, v2, v7
	global_store_b32 v[0:1], v3, off
.LBB4_2:
	s_nop 0
	s_sendmsg sendmsg(MSG_DEALLOC_VGPRS)
	s_endpgm
	.section	.rodata,"a",@progbits
	.p2align	6, 0x0
	.amdhsa_kernel _Z5srad2fiilPKiS0_S0_S0_PKfS2_S2_S2_S2_Pf
		.amdhsa_group_segment_fixed_size 0
		.amdhsa_private_segment_fixed_size 0
		.amdhsa_kernarg_size 104
		.amdhsa_user_sgpr_count 15
		.amdhsa_user_sgpr_dispatch_ptr 0
		.amdhsa_user_sgpr_queue_ptr 0
		.amdhsa_user_sgpr_kernarg_segment_ptr 1
		.amdhsa_user_sgpr_dispatch_id 0
		.amdhsa_user_sgpr_private_segment_size 0
		.amdhsa_wavefront_size32 1
		.amdhsa_uses_dynamic_stack 0
		.amdhsa_enable_private_segment 0
		.amdhsa_system_sgpr_workgroup_id_x 1
		.amdhsa_system_sgpr_workgroup_id_y 0
		.amdhsa_system_sgpr_workgroup_id_z 0
		.amdhsa_system_sgpr_workgroup_info 0
		.amdhsa_system_vgpr_workitem_id 0
		.amdhsa_next_free_vgpr 14
		.amdhsa_next_free_sgpr 16
		.amdhsa_reserve_vcc 1
		.amdhsa_float_round_mode_32 0
		.amdhsa_float_round_mode_16_64 0
		.amdhsa_float_denorm_mode_32 3
		.amdhsa_float_denorm_mode_16_64 3
		.amdhsa_dx10_clamp 1
		.amdhsa_ieee_mode 1
		.amdhsa_fp16_overflow 0
		.amdhsa_workgroup_processor_mode 1
		.amdhsa_memory_ordered 1
		.amdhsa_forward_progress 0
		.amdhsa_shared_vgpr_count 0
		.amdhsa_exception_fp_ieee_invalid_op 0
		.amdhsa_exception_fp_denorm_src 0
		.amdhsa_exception_fp_ieee_div_zero 0
		.amdhsa_exception_fp_ieee_overflow 0
		.amdhsa_exception_fp_ieee_underflow 0
		.amdhsa_exception_fp_ieee_inexact 0
		.amdhsa_exception_int_div_zero 0
	.end_amdhsa_kernel
	.text
.Lfunc_end4:
	.size	_Z5srad2fiilPKiS0_S0_S0_PKfS2_S2_S2_S2_Pf, .Lfunc_end4-_Z5srad2fiilPKiS0_S0_S0_PKfS2_S2_S2_S2_Pf
                                        ; -- End function
	.section	.AMDGPU.csdata,"",@progbits
; Kernel info:
; codeLenInByte = 684
; NumSgprs: 18
; NumVgprs: 14
; ScratchSize: 0
; MemoryBound: 0
; FloatMode: 240
; IeeeMode: 1
; LDSByteSize: 0 bytes/workgroup (compile time only)
; SGPRBlocks: 2
; VGPRBlocks: 1
; NumSGPRsForWavesPerEU: 18
; NumVGPRsForWavesPerEU: 14
; Occupancy: 16
; WaveLimiterHint : 1
; COMPUTE_PGM_RSRC2:SCRATCH_EN: 0
; COMPUTE_PGM_RSRC2:USER_SGPR: 15
; COMPUTE_PGM_RSRC2:TRAP_HANDLER: 0
; COMPUTE_PGM_RSRC2:TGID_X_EN: 1
; COMPUTE_PGM_RSRC2:TGID_Y_EN: 0
; COMPUTE_PGM_RSRC2:TGID_Z_EN: 0
; COMPUTE_PGM_RSRC2:TIDIG_COMP_CNT: 0
	.text
	.protected	_Z8compresslPf          ; -- Begin function _Z8compresslPf
	.globl	_Z8compresslPf
	.p2align	8
	.type	_Z8compresslPf,@function
_Z8compresslPf:                         ; @_Z8compresslPf
; %bb.0:
	s_load_b128 s[0:3], s[0:1], 0x0
	v_lshl_add_u32 v0, s15, 8, v0
	s_delay_alu instid0(VALU_DEP_1) | instskip(SKIP_1) | instid1(VALU_DEP_1)
	v_ashrrev_i32_e32 v1, 31, v0
	s_waitcnt lgkmcnt(0)
	v_cmp_gt_i64_e32 vcc_lo, s[0:1], v[0:1]
	s_and_saveexec_b32 s0, vcc_lo
	s_cbranch_execz .LBB5_2
; %bb.1:
	v_lshlrev_b64 v[0:1], 2, v[0:1]
	s_delay_alu instid0(VALU_DEP_1) | instskip(NEXT) | instid1(VALU_DEP_2)
	v_add_co_u32 v0, vcc_lo, s2, v0
	v_add_co_ci_u32_e32 v1, vcc_lo, s3, v1, vcc_lo
	global_load_b32 v2, v[0:1], off
	s_waitcnt vmcnt(0)
	v_cmp_gt_f32_e32 vcc_lo, 0x800000, v2
	v_cndmask_b32_e64 v3, 1.0, 0x4f800000, vcc_lo
	s_delay_alu instid0(VALU_DEP_1) | instskip(NEXT) | instid1(VALU_DEP_1)
	v_mul_f32_e32 v2, v2, v3
	v_log_f32_e32 v2, v2
	s_waitcnt_depctr 0xfff
	v_mul_f32_e32 v3, 0x3f317217, v2
	v_cmp_gt_f32_e64 s0, 0x7f800000, |v2|
	s_delay_alu instid0(VALU_DEP_2) | instskip(NEXT) | instid1(VALU_DEP_1)
	v_fma_f32 v4, 0x3f317217, v2, -v3
	v_fmamk_f32 v4, v2, 0x3377d1cf, v4
	s_delay_alu instid0(VALU_DEP_1) | instskip(NEXT) | instid1(VALU_DEP_1)
	v_add_f32_e32 v3, v3, v4
	v_cndmask_b32_e64 v2, v2, v3, s0
	v_cndmask_b32_e64 v3, 0, 0x41b17218, vcc_lo
	s_delay_alu instid0(VALU_DEP_1) | instskip(NEXT) | instid1(VALU_DEP_1)
	v_sub_f32_e32 v2, v2, v3
	v_mul_f32_e32 v2, 0x437f0000, v2
	global_store_b32 v[0:1], v2, off
.LBB5_2:
	s_nop 0
	s_sendmsg sendmsg(MSG_DEALLOC_VGPRS)
	s_endpgm
	.section	.rodata,"a",@progbits
	.p2align	6, 0x0
	.amdhsa_kernel _Z8compresslPf
		.amdhsa_group_segment_fixed_size 0
		.amdhsa_private_segment_fixed_size 0
		.amdhsa_kernarg_size 16
		.amdhsa_user_sgpr_count 15
		.amdhsa_user_sgpr_dispatch_ptr 0
		.amdhsa_user_sgpr_queue_ptr 0
		.amdhsa_user_sgpr_kernarg_segment_ptr 1
		.amdhsa_user_sgpr_dispatch_id 0
		.amdhsa_user_sgpr_private_segment_size 0
		.amdhsa_wavefront_size32 1
		.amdhsa_uses_dynamic_stack 0
		.amdhsa_enable_private_segment 0
		.amdhsa_system_sgpr_workgroup_id_x 1
		.amdhsa_system_sgpr_workgroup_id_y 0
		.amdhsa_system_sgpr_workgroup_id_z 0
		.amdhsa_system_sgpr_workgroup_info 0
		.amdhsa_system_vgpr_workitem_id 0
		.amdhsa_next_free_vgpr 5
		.amdhsa_next_free_sgpr 16
		.amdhsa_reserve_vcc 1
		.amdhsa_float_round_mode_32 0
		.amdhsa_float_round_mode_16_64 0
		.amdhsa_float_denorm_mode_32 3
		.amdhsa_float_denorm_mode_16_64 3
		.amdhsa_dx10_clamp 1
		.amdhsa_ieee_mode 1
		.amdhsa_fp16_overflow 0
		.amdhsa_workgroup_processor_mode 1
		.amdhsa_memory_ordered 1
		.amdhsa_forward_progress 0
		.amdhsa_shared_vgpr_count 0
		.amdhsa_exception_fp_ieee_invalid_op 0
		.amdhsa_exception_fp_denorm_src 0
		.amdhsa_exception_fp_ieee_div_zero 0
		.amdhsa_exception_fp_ieee_overflow 0
		.amdhsa_exception_fp_ieee_underflow 0
		.amdhsa_exception_fp_ieee_inexact 0
		.amdhsa_exception_int_div_zero 0
	.end_amdhsa_kernel
	.text
.Lfunc_end5:
	.size	_Z8compresslPf, .Lfunc_end5-_Z8compresslPf
                                        ; -- End function
	.section	.AMDGPU.csdata,"",@progbits
; Kernel info:
; codeLenInByte = 220
; NumSgprs: 18
; NumVgprs: 5
; ScratchSize: 0
; MemoryBound: 0
; FloatMode: 240
; IeeeMode: 1
; LDSByteSize: 0 bytes/workgroup (compile time only)
; SGPRBlocks: 2
; VGPRBlocks: 0
; NumSGPRsForWavesPerEU: 18
; NumVGPRsForWavesPerEU: 5
; Occupancy: 16
; WaveLimiterHint : 0
; COMPUTE_PGM_RSRC2:SCRATCH_EN: 0
; COMPUTE_PGM_RSRC2:USER_SGPR: 15
; COMPUTE_PGM_RSRC2:TRAP_HANDLER: 0
; COMPUTE_PGM_RSRC2:TGID_X_EN: 1
; COMPUTE_PGM_RSRC2:TGID_Y_EN: 0
; COMPUTE_PGM_RSRC2:TGID_Z_EN: 0
; COMPUTE_PGM_RSRC2:TIDIG_COMP_CNT: 0
	.text
	.p2alignl 7, 3214868480
	.fill 96, 4, 3214868480
	.type	__hip_cuid_8f792ab08384fb86,@object ; @__hip_cuid_8f792ab08384fb86
	.section	.bss,"aw",@nobits
	.globl	__hip_cuid_8f792ab08384fb86
__hip_cuid_8f792ab08384fb86:
	.byte	0                               ; 0x0
	.size	__hip_cuid_8f792ab08384fb86, 1

	.ident	"AMD clang version 19.0.0git (https://github.com/RadeonOpenCompute/llvm-project roc-6.4.0 25133 c7fe45cf4b819c5991fe208aaa96edf142730f1d)"
	.section	".note.GNU-stack","",@progbits
	.addrsig
	.addrsig_sym __hip_cuid_8f792ab08384fb86
	.amdgpu_metadata
---
amdhsa.kernels:
  - .args:
      - .offset:         0
        .size:           8
        .value_kind:     by_value
      - .address_space:  global
        .offset:         8
        .size:           8
        .value_kind:     global_buffer
    .group_segment_fixed_size: 0
    .kernarg_segment_align: 8
    .kernarg_segment_size: 16
    .language:       OpenCL C
    .language_version:
      - 2
      - 0
    .max_flat_workgroup_size: 1024
    .name:           _Z7extractlPf
    .private_segment_fixed_size: 0
    .sgpr_count:     18
    .sgpr_spill_count: 0
    .symbol:         _Z7extractlPf.kd
    .uniform_work_group_size: 1
    .uses_dynamic_stack: false
    .vgpr_count:     8
    .vgpr_spill_count: 0
    .wavefront_size: 32
    .workgroup_processor_mode: 1
  - .args:
      - .offset:         0
        .size:           8
        .value_kind:     by_value
      - .address_space:  global
        .offset:         8
        .size:           8
        .value_kind:     global_buffer
      - .address_space:  global
        .offset:         16
        .size:           8
        .value_kind:     global_buffer
      - .address_space:  global
        .offset:         24
        .size:           8
        .value_kind:     global_buffer
    .group_segment_fixed_size: 0
    .kernarg_segment_align: 8
    .kernarg_segment_size: 32
    .language:       OpenCL C
    .language_version:
      - 2
      - 0
    .max_flat_workgroup_size: 1024
    .name:           _Z7preparelPKfPfS1_
    .private_segment_fixed_size: 0
    .sgpr_count:     18
    .sgpr_spill_count: 0
    .symbol:         _Z7preparelPKfPfS1_.kd
    .uniform_work_group_size: 1
    .uses_dynamic_stack: false
    .vgpr_count:     6
    .vgpr_spill_count: 0
    .wavefront_size: 32
    .workgroup_processor_mode: 1
  - .args:
      - .offset:         0
        .size:           8
        .value_kind:     by_value
      - .offset:         8
        .size:           4
        .value_kind:     by_value
      - .offset:         12
        .size:           4
        .value_kind:     by_value
      - .address_space:  global
        .offset:         16
        .size:           8
        .value_kind:     global_buffer
      - .address_space:  global
        .offset:         24
        .size:           8
        .value_kind:     global_buffer
      - .offset:         32
        .size:           4
        .value_kind:     hidden_block_count_x
      - .offset:         36
        .size:           4
        .value_kind:     hidden_block_count_y
      - .offset:         40
        .size:           4
        .value_kind:     hidden_block_count_z
      - .offset:         44
        .size:           2
        .value_kind:     hidden_group_size_x
      - .offset:         46
        .size:           2
        .value_kind:     hidden_group_size_y
      - .offset:         48
        .size:           2
        .value_kind:     hidden_group_size_z
      - .offset:         50
        .size:           2
        .value_kind:     hidden_remainder_x
      - .offset:         52
        .size:           2
        .value_kind:     hidden_remainder_y
      - .offset:         54
        .size:           2
        .value_kind:     hidden_remainder_z
      - .offset:         72
        .size:           8
        .value_kind:     hidden_global_offset_x
      - .offset:         80
        .size:           8
        .value_kind:     hidden_global_offset_y
      - .offset:         88
        .size:           8
        .value_kind:     hidden_global_offset_z
      - .offset:         96
        .size:           2
        .value_kind:     hidden_grid_dims
    .group_segment_fixed_size: 2048
    .kernarg_segment_align: 8
    .kernarg_segment_size: 288
    .language:       OpenCL C
    .language_version:
      - 2
      - 0
    .max_flat_workgroup_size: 1024
    .name:           _Z6reduceliiPfS_
    .private_segment_fixed_size: 0
    .sgpr_count:     20
    .sgpr_spill_count: 0
    .symbol:         _Z6reduceliiPfS_.kd
    .uniform_work_group_size: 1
    .uses_dynamic_stack: false
    .vgpr_count:     8
    .vgpr_spill_count: 0
    .wavefront_size: 32
    .workgroup_processor_mode: 1
  - .args:
      - .offset:         0
        .size:           4
        .value_kind:     by_value
      - .offset:         4
        .size:           4
        .value_kind:     by_value
      - .offset:         8
        .size:           4
        .value_kind:     by_value
      - .offset:         16
        .size:           8
        .value_kind:     by_value
      - .address_space:  global
        .offset:         24
        .size:           8
        .value_kind:     global_buffer
      - .address_space:  global
        .offset:         32
        .size:           8
        .value_kind:     global_buffer
      - .address_space:  global
        .offset:         40
        .size:           8
        .value_kind:     global_buffer
      - .address_space:  global
        .offset:         48
        .size:           8
        .value_kind:     global_buffer
      - .address_space:  global
        .offset:         56
        .size:           8
        .value_kind:     global_buffer
      - .address_space:  global
        .offset:         64
        .size:           8
        .value_kind:     global_buffer
      - .address_space:  global
        .offset:         72
        .size:           8
        .value_kind:     global_buffer
      - .address_space:  global
        .offset:         80
        .size:           8
        .value_kind:     global_buffer
      - .offset:         88
        .size:           4
        .value_kind:     by_value
      - .address_space:  global
        .offset:         96
        .size:           8
        .value_kind:     global_buffer
      - .address_space:  global
        .offset:         104
        .size:           8
        .value_kind:     global_buffer
    .group_segment_fixed_size: 0
    .kernarg_segment_align: 8
    .kernarg_segment_size: 112
    .language:       OpenCL C
    .language_version:
      - 2
      - 0
    .max_flat_workgroup_size: 1024
    .name:           _Z4sradfiilPKiS0_S0_S0_PfS1_S1_S1_fS1_PKf
    .private_segment_fixed_size: 0
    .sgpr_count:     34
    .sgpr_spill_count: 0
    .symbol:         _Z4sradfiilPKiS0_S0_S0_PfS1_S1_S1_fS1_PKf.kd
    .uniform_work_group_size: 1
    .uses_dynamic_stack: false
    .vgpr_count:     20
    .vgpr_spill_count: 0
    .wavefront_size: 32
    .workgroup_processor_mode: 1
  - .args:
      - .offset:         0
        .size:           4
        .value_kind:     by_value
      - .offset:         4
        .size:           4
        .value_kind:     by_value
      - .offset:         8
        .size:           4
        .value_kind:     by_value
      - .offset:         16
        .size:           8
        .value_kind:     by_value
      - .address_space:  global
        .offset:         24
        .size:           8
        .value_kind:     global_buffer
      - .address_space:  global
        .offset:         32
        .size:           8
        .value_kind:     global_buffer
      - .address_space:  global
        .offset:         40
        .size:           8
        .value_kind:     global_buffer
      - .address_space:  global
        .offset:         48
        .size:           8
        .value_kind:     global_buffer
      - .address_space:  global
        .offset:         56
        .size:           8
        .value_kind:     global_buffer
      - .address_space:  global
        .offset:         64
        .size:           8
        .value_kind:     global_buffer
      - .address_space:  global
        .offset:         72
        .size:           8
        .value_kind:     global_buffer
      - .address_space:  global
        .offset:         80
        .size:           8
        .value_kind:     global_buffer
      - .address_space:  global
        .offset:         88
        .size:           8
        .value_kind:     global_buffer
      - .address_space:  global
        .offset:         96
        .size:           8
        .value_kind:     global_buffer
    .group_segment_fixed_size: 0
    .kernarg_segment_align: 8
    .kernarg_segment_size: 104
    .language:       OpenCL C
    .language_version:
      - 2
      - 0
    .max_flat_workgroup_size: 1024
    .name:           _Z5srad2fiilPKiS0_S0_S0_PKfS2_S2_S2_S2_Pf
    .private_segment_fixed_size: 0
    .sgpr_count:     18
    .sgpr_spill_count: 0
    .symbol:         _Z5srad2fiilPKiS0_S0_S0_PKfS2_S2_S2_S2_Pf.kd
    .uniform_work_group_size: 1
    .uses_dynamic_stack: false
    .vgpr_count:     14
    .vgpr_spill_count: 0
    .wavefront_size: 32
    .workgroup_processor_mode: 1
  - .args:
      - .offset:         0
        .size:           8
        .value_kind:     by_value
      - .address_space:  global
        .offset:         8
        .size:           8
        .value_kind:     global_buffer
    .group_segment_fixed_size: 0
    .kernarg_segment_align: 8
    .kernarg_segment_size: 16
    .language:       OpenCL C
    .language_version:
      - 2
      - 0
    .max_flat_workgroup_size: 1024
    .name:           _Z8compresslPf
    .private_segment_fixed_size: 0
    .sgpr_count:     18
    .sgpr_spill_count: 0
    .symbol:         _Z8compresslPf.kd
    .uniform_work_group_size: 1
    .uses_dynamic_stack: false
    .vgpr_count:     5
    .vgpr_spill_count: 0
    .wavefront_size: 32
    .workgroup_processor_mode: 1
amdhsa.target:   amdgcn-amd-amdhsa--gfx1100
amdhsa.version:
  - 1
  - 2
...

	.end_amdgpu_metadata
